;; amdgpu-corpus repo=ROCm/rocFFT kind=compiled arch=gfx906 opt=O3
	.text
	.amdgcn_target "amdgcn-amd-amdhsa--gfx906"
	.amdhsa_code_object_version 6
	.protected	fft_rtc_fwd_len168_factors_7_8_3_wgs_252_tpt_21_halfLds_dim2_dp_op_CI_CI_sbcc_twdbase5_3step_dirReg_intrinsicReadWrite ; -- Begin function fft_rtc_fwd_len168_factors_7_8_3_wgs_252_tpt_21_halfLds_dim2_dp_op_CI_CI_sbcc_twdbase5_3step_dirReg_intrinsicReadWrite
	.globl	fft_rtc_fwd_len168_factors_7_8_3_wgs_252_tpt_21_halfLds_dim2_dp_op_CI_CI_sbcc_twdbase5_3step_dirReg_intrinsicReadWrite
	.p2align	8
	.type	fft_rtc_fwd_len168_factors_7_8_3_wgs_252_tpt_21_halfLds_dim2_dp_op_CI_CI_sbcc_twdbase5_3step_dirReg_intrinsicReadWrite,@function
fft_rtc_fwd_len168_factors_7_8_3_wgs_252_tpt_21_halfLds_dim2_dp_op_CI_CI_sbcc_twdbase5_3step_dirReg_intrinsicReadWrite: ; @fft_rtc_fwd_len168_factors_7_8_3_wgs_252_tpt_21_halfLds_dim2_dp_op_CI_CI_sbcc_twdbase5_3step_dirReg_intrinsicReadWrite
; %bb.0:
	s_load_dwordx2 s[8:9], s[4:5], 0x58
	s_load_dwordx4 s[0:3], s[4:5], 0x10
	s_load_dwordx2 s[16:17], s[4:5], 0x20
	s_movk_i32 s7, 0x60
	v_cmp_gt_u32_e32 vcc, s7, v0
	s_and_saveexec_b64 s[10:11], vcc
	s_cbranch_execz .LBB0_2
; %bb.1:
	s_load_dwordx2 s[12:13], s[4:5], 0x8
	v_lshlrev_b32_e32 v5, 4, v0
	s_waitcnt lgkmcnt(0)
	global_load_dwordx4 v[1:4], v5, s[12:13]
	v_add_u32_e32 v5, 0, v5
	v_add_u32_e32 v5, 0x3f00, v5
	s_waitcnt vmcnt(0)
	ds_write2_b64 v5, v[1:2], v[3:4] offset1:1
.LBB0_2:
	s_or_b64 exec, exec, s[10:11]
	s_waitcnt lgkmcnt(0)
	s_load_dwordx2 s[18:19], s[0:1], 0x8
	s_load_dwordx2 s[12:13], s[2:3], 0x0
	s_mov_b32 s7, 0
	s_waitcnt lgkmcnt(0)
	s_add_u32 s0, s18, -1
	s_addc_u32 s1, s19, -1
	s_add_u32 s10, 0, 0x55540000
	s_addc_u32 s11, 0, 0x55
	s_add_i32 s11, s11, 0x15555500
	s_mul_hi_u32 s20, s10, -12
	s_sub_i32 s20, s20, s10
	s_mul_i32 s21, s11, -12
	s_mul_i32 s13, s10, -12
	s_add_i32 s20, s20, s21
	s_mul_hi_u32 s14, s11, s13
	s_mul_i32 s15, s11, s13
	s_mul_i32 s22, s10, s20
	s_mul_hi_u32 s13, s10, s13
	s_mul_hi_u32 s21, s10, s20
	s_add_u32 s13, s13, s22
	s_addc_u32 s21, 0, s21
	s_add_u32 s13, s13, s15
	s_mul_hi_u32 s22, s11, s20
	s_addc_u32 s13, s21, s14
	s_addc_u32 s14, s22, 0
	s_mul_i32 s15, s11, s20
	s_add_u32 s13, s13, s15
	v_mov_b32_e32 v1, s13
	s_addc_u32 s14, 0, s14
	v_add_co_u32_e32 v1, vcc, s10, v1
	s_cmp_lg_u64 vcc, 0
	s_addc_u32 s10, s11, s14
	v_readfirstlane_b32 s14, v1
	s_mul_i32 s13, s0, s10
	s_mul_hi_u32 s15, s0, s14
	s_mul_hi_u32 s11, s0, s10
	s_add_u32 s13, s15, s13
	s_addc_u32 s11, 0, s11
	s_mul_hi_u32 s20, s1, s14
	s_mul_i32 s14, s1, s14
	s_add_u32 s13, s13, s14
	s_mul_hi_u32 s15, s1, s10
	s_addc_u32 s11, s11, s20
	s_addc_u32 s13, s15, 0
	s_mul_i32 s10, s1, s10
	s_add_u32 s10, s11, s10
	s_addc_u32 s11, 0, s13
	s_add_u32 s13, s10, 1
	s_addc_u32 s14, s11, 0
	s_add_u32 s15, s10, 2
	s_mul_i32 s21, s11, 12
	s_mul_hi_u32 s22, s10, 12
	s_addc_u32 s20, s11, 0
	s_add_i32 s22, s22, s21
	s_mul_i32 s21, s10, 12
	v_mov_b32_e32 v1, s21
	v_sub_co_u32_e32 v1, vcc, s0, v1
	s_cmp_lg_u64 vcc, 0
	s_subb_u32 s0, s1, s22
	v_subrev_co_u32_e32 v2, vcc, 12, v1
	s_cmp_lg_u64 vcc, 0
	s_subb_u32 s1, s0, 0
	v_readfirstlane_b32 s21, v2
	s_cmp_gt_u32 s21, 11
	s_cselect_b32 s21, -1, 0
	s_cmp_eq_u32 s1, 0
	s_cselect_b32 s1, s21, -1
	s_cmp_lg_u32 s1, 0
	s_cselect_b32 s1, s15, s13
	s_cselect_b32 s13, s20, s14
	v_readfirstlane_b32 s14, v1
	s_cmp_gt_u32 s14, 11
	s_cselect_b32 s14, -1, 0
	s_cmp_eq_u32 s0, 0
	s_cselect_b32 s0, s14, -1
	s_cmp_lg_u32 s0, 0
	s_cselect_b32 s0, s1, s10
	s_cselect_b32 s11, s13, s11
	s_add_u32 s0, s0, 1
	s_addc_u32 s1, s11, 0
	v_mov_b32_e32 v2, s1
	v_mov_b32_e32 v1, s0
	v_cmp_lt_u64_e32 vcc, s[6:7], v[1:2]
	s_mov_b64 s[14:15], 0
	s_cbranch_vccnz .LBB0_4
; %bb.3:
	v_cvt_f32_u32_e32 v1, s0
	s_sub_i32 s7, 0, s0
	v_rcp_iflag_f32_e32 v1, v1
	v_mul_f32_e32 v1, 0x4f7ffffe, v1
	v_cvt_u32_f32_e32 v1, v1
	v_readfirstlane_b32 s10, v1
	s_mul_i32 s7, s7, s10
	s_mul_hi_u32 s7, s10, s7
	s_add_i32 s10, s10, s7
	s_mul_hi_u32 s7, s6, s10
	s_mul_i32 s11, s7, s0
	s_sub_i32 s11, s6, s11
	s_add_i32 s10, s7, 1
	s_sub_i32 s13, s11, s0
	s_cmp_ge_u32 s11, s0
	s_cselect_b32 s7, s10, s7
	s_cselect_b32 s11, s13, s11
	s_add_i32 s10, s7, 1
	s_cmp_ge_u32 s11, s0
	s_cselect_b32 s14, s10, s7
.LBB0_4:
	s_mul_i32 s1, s14, s1
	s_mul_hi_u32 s7, s14, s0
	s_add_i32 s7, s7, s1
	s_mul_i32 s0, s14, s0
	s_sub_u32 s6, s6, s0
	s_load_dwordx4 s[0:3], s[2:3], 0x8
	v_mul_u32_u24_e32 v1, 0x1556, v0
	s_subb_u32 s7, 0, s7
	v_lshrrev_b32_e32 v85, 16, v1
	s_mul_i32 s7, s7, 12
	s_waitcnt lgkmcnt(0)
	s_mul_hi_u32 s1, s6, 12
	s_mul_i32 s15, s6, 12
	v_mul_lo_u16_e32 v1, 12, v85
	s_add_i32 s1, s1, s7
	s_mul_i32 s3, s15, s0
	s_mul_i32 s2, s2, s14
	v_sub_u16_e32 v82, v0, v1
	s_add_i32 s6, s2, s3
	v_mov_b32_e32 v1, s1
	v_add_co_u32_e32 v57, vcc, s15, v82
	v_addc_co_u32_e32 v58, vcc, 0, v1, vcc
	s_add_u32 s2, s15, 12
	v_mov_b32_e32 v1, s18
	s_addc_u32 s3, s1, 0
	v_mov_b32_e32 v2, s19
	v_add_u32_e32 v6, 0x48, v85
	v_cmp_le_u64_e32 vcc, s[2:3], v[1:2]
	v_add_u32_e32 v2, 48, v85
	v_mul_lo_u32 v9, s12, v6
	v_or_b32_e32 v6, 0x60, v85
	v_mul_lo_u32 v45, s0, v82
	v_mul_lo_u32 v5, s12, v2
	v_mul_lo_u32 v10, s12, v6
	v_add_u32_e32 v6, 0x78, v85
	v_add_u32_e32 v1, 24, v85
	v_mul_lo_u32 v6, s12, v6
	v_add_u32_e32 v7, 0x90, v85
	v_mul_lo_u32 v1, s12, v1
	v_cmp_gt_u64_e64 s[0:1], s[18:19], v[57:58]
	v_mul_lo_u32 v7, s12, v7
	v_cndmask_b32_e64 v83, 0, 1, s[0:1]
	s_or_b64 s[0:1], vcc, s[0:1]
	v_add_lshl_u32 v5, v45, v5, 4
	v_cndmask_b32_e64 v11, -1, v5, s[0:1]
	v_add_lshl_u32 v5, v45, v6, 4
	v_add_lshl_u32 v1, v45, v1, 4
	v_cndmask_b32_e64 v12, -1, v5, s[0:1]
	v_add_lshl_u32 v5, v45, v7, 4
	s_lshl_b32 s13, s6, 4
	s_mov_b32 s11, 0x20000
	s_mov_b32 s10, -2
	v_cndmask_b32_e64 v1, -1, v1, s[0:1]
	v_cndmask_b32_e64 v5, -1, v5, s[0:1]
	buffer_load_dwordx4 v[1:4], v1, s[8:11], s13 offen
	v_add_lshl_u32 v9, v45, v9, 4
	buffer_load_dwordx4 v[5:8], v5, s[8:11], s13 offen
	v_add_lshl_u32 v10, v45, v10, 4
	v_cndmask_b32_e64 v9, -1, v9, s[0:1]
	v_cndmask_b32_e64 v10, -1, v10, s[0:1]
	buffer_load_dwordx4 v[17:20], v11, s[8:11], s13 offen
	buffer_load_dwordx4 v[13:16], v9, s[8:11], s13 offen
	;; [unrolled: 1-line block ×4, first 2 shown]
	v_mul_lo_u32 v29, s12, v85
	v_add_u32_e32 v10, 45, v85
	v_cmp_lt_u32_e64 s[6:7], 35, v0
	v_cmp_gt_u32_e64 s[2:3], 36, v0
	v_add_lshl_u32 v9, v45, v29, 4
	v_add_u32_e32 v11, 0x45, v85
	v_add_u32_e32 v12, 0x5d, v85
	;; [unrolled: 1-line block ×4, first 2 shown]
	v_mul_lo_u32 v10, s12, v10
	v_cndmask_b32_e64 v46, -1, v9, s[0:1]
	v_cndmask_b32_e64 v9, 0, 1, s[2:3]
	v_mul_lo_u32 v11, s12, v11
	v_mul_lo_u32 v47, s12, v12
	v_mul_lo_u32 v12, s12, v30
	v_mul_lo_u32 v30, s12, v31
	s_or_b64 s[6:7], s[6:7], vcc
	v_cndmask_b32_e64 v9, v83, v9, s[6:7]
	v_and_b32_e32 v9, 1, v9
	v_add_u32_e32 v29, 0x75, v85
	v_add_lshl_u32 v10, v45, v10, 4
	v_cmp_eq_u32_e64 s[6:7], 1, v9
	v_add_lshl_u32 v11, v45, v11, 4
	v_mul_lo_u32 v48, s12, v29
	v_add_lshl_u32 v12, v45, v12, 4
	v_add_lshl_u32 v29, v45, v30, 4
	v_cndmask_b32_e64 v49, -1, v10, s[6:7]
	v_cndmask_b32_e64 v50, -1, v11, s[6:7]
	;; [unrolled: 1-line block ×4, first 2 shown]
	buffer_load_dwordx4 v[33:36], v49, s[8:11], s13 offen
	buffer_load_dwordx4 v[29:32], v50, s[8:11], s13 offen
	;; [unrolled: 1-line block ×5, first 2 shown]
	v_add_lshl_u32 v46, v45, v47, 4
	v_add_lshl_u32 v47, v45, v48, 4
	v_cndmask_b32_e64 v46, -1, v46, s[6:7]
	v_cndmask_b32_e64 v47, -1, v47, s[6:7]
	buffer_load_dwordx4 v[49:52], v46, s[8:11], s13 offen
	buffer_load_dwordx4 v[53:56], v47, s[8:11], s13 offen
	v_add_u32_e32 v84, 21, v85
	v_mul_lo_u32 v46, s12, v84
	s_mov_b32 s26, 0x37e14327
	s_mov_b32 s18, 0xe976ee23
	;; [unrolled: 1-line block ×3, first 2 shown]
	v_add_lshl_u32 v45, v45, v46, 4
	v_cndmask_b32_e64 v45, -1, v45, s[6:7]
	buffer_load_dwordx4 v[45:48], v45, s[8:11], s13 offen
	s_mov_b32 s30, 0x429ad128
	s_mov_b32 s27, 0x3fe948f6
	;; [unrolled: 1-line block ×17, first 2 shown]
	s_movk_i32 s6, 0x2a0
	s_waitcnt vmcnt(12)
	v_add_f64 v[62:63], v[1:2], v[5:6]
	v_add_f64 v[70:71], v[3:4], -v[7:8]
	s_waitcnt vmcnt(9)
	v_add_f64 v[64:65], v[17:18], v[25:26]
	v_add_f64 v[58:59], v[19:20], -v[27:28]
	s_waitcnt vmcnt(8)
	v_add_f64 v[60:61], v[23:24], -v[15:16]
	v_add_f64 v[66:67], v[13:14], v[21:22]
	v_add_f64 v[68:69], v[64:65], v[62:63]
	v_add_f64 v[78:79], v[58:59], -v[70:71]
	v_add_f64 v[72:73], v[60:61], -v[58:59]
	v_add_f64 v[76:77], v[60:61], v[58:59]
	v_add_f64 v[80:81], v[70:71], -v[60:61]
	v_add_f64 v[74:75], v[62:63], -v[66:67]
	;; [unrolled: 1-line block ×3, first 2 shown]
	v_add_f64 v[68:69], v[66:67], v[68:69]
	v_add_f64 v[66:67], v[66:67], -v[64:65]
	v_mul_f64 v[72:73], v[72:73], s[18:19]
	v_add_f64 v[90:91], v[76:77], v[70:71]
	v_mul_f64 v[74:75], v[74:75], s[26:27]
	v_mul_f64 v[94:95], v[66:67], s[20:21]
	v_fma_f64 v[96:97], v[80:81], s[28:29], v[72:73]
	v_fma_f64 v[72:73], v[78:79], s[30:31], -v[72:73]
	v_fma_f64 v[66:67], v[66:67], s[20:21], v[74:75]
	s_waitcnt vmcnt(5)
	v_add_f64 v[58:59], v[33:34], v[41:42]
	s_waitcnt vmcnt(4)
	v_add_f64 v[60:61], v[29:30], v[37:38]
	;; [unrolled: 2-line block ×3, first 2 shown]
	v_add_f64 v[62:63], v[35:36], -v[43:44]
	v_mul_f64 v[9:10], v[78:79], s[30:31]
	v_add_f64 v[64:65], v[31:32], -v[39:40]
	s_waitcnt vmcnt(1)
	v_add_f64 v[70:71], v[49:50], v[53:54]
	v_add_f64 v[92:93], v[55:56], -v[51:52]
	v_add_f64 v[76:77], v[60:61], v[58:59]
	v_fma_f64 v[98:99], v[68:69], s[24:25], v[88:89]
	v_fma_f64 v[104:105], v[80:81], s[34:35], -v[9:10]
	v_add_f64 v[68:69], v[58:59], -v[70:71]
	v_add_f64 v[102:103], v[62:63], -v[92:93]
	v_add_f64 v[100:101], v[70:71], v[76:77]
	v_add_f64 v[76:77], v[70:71], -v[60:61]
	v_add_f64 v[80:81], v[92:93], v[64:65]
	v_add_f64 v[78:79], v[92:93], -v[64:65]
	v_fma_f64 v[92:93], v[90:91], s[22:23], v[96:97]
	v_mul_f64 v[70:71], v[68:69], s[26:27]
	v_mul_f64 v[68:69], v[102:103], s[28:29]
	s_waitcnt vmcnt(0)
	v_add_f64 v[9:10], v[45:46], v[100:101]
	v_fma_f64 v[45:46], v[86:87], s[36:37], -v[74:75]
	v_fma_f64 v[74:75], v[86:87], s[38:39], -v[94:95]
	v_add_f64 v[94:95], v[66:67], v[98:99]
	v_add_f64 v[80:81], v[80:81], v[62:63]
	v_fma_f64 v[102:103], v[90:91], s[22:23], v[72:73]
	v_fma_f64 v[96:97], v[76:77], s[20:21], v[70:71]
	;; [unrolled: 1-line block ×5, first 2 shown]
	v_add_f64 v[45:46], v[45:46], v[98:99]
	v_add_f64 v[98:99], v[74:75], v[98:99]
	v_mad_u32_u24 v87, v85, s6, 0
	s_load_dwordx2 s[6:7], s[4:5], 0x0
	s_load_dwordx2 s[12:13], s[16:17], 0x0
	s_load_dwordx4 s[8:11], s[16:17], 0x8
	v_lshl_add_u32 v86, v82, 3, v87
	v_add_f64 v[72:73], v[96:97], v[66:67]
	v_fma_f64 v[74:75], v[80:81], s[22:23], v[100:101]
	v_add_f64 v[96:97], v[92:93], v[94:95]
	v_add_f64 v[100:101], v[90:91], v[45:46]
	v_add_f64 v[90:91], v[45:46], -v[90:91]
	v_add_f64 v[104:105], v[98:99], -v[102:103]
	v_add_f64 v[98:99], v[102:103], v[98:99]
	v_add_f64 v[92:93], v[94:95], -v[92:93]
	ds_write2_b64 v86, v[88:89], v[96:97] offset1:12
	ds_write2_b64 v86, v[100:101], v[104:105] offset0:24 offset1:36
	ds_write2_b64 v86, v[98:99], v[90:91] offset0:48 offset1:60
	ds_write_b64 v86, v[92:93] offset:576
	v_add_f64 v[45:46], v[74:75], v[72:73]
	s_and_saveexec_b64 s[16:17], s[2:3]
	s_cbranch_execz .LBB0_6
; %bb.5:
	v_add_f64 v[58:59], v[60:61], -v[58:59]
	v_add_f64 v[60:61], v[64:65], -v[62:63]
	v_mul_f64 v[62:63], v[76:77], s[20:21]
	v_mul_f64 v[64:65], v[78:79], s[18:19]
	s_mov_b32 s41, 0xbfebfeb5
	s_mov_b32 s40, s30
	v_mul_f64 v[76:77], v[80:81], s[22:23]
	v_fma_f64 v[70:71], v[58:59], s[36:37], -v[70:71]
	v_fma_f64 v[68:69], v[60:61], s[40:41], -v[68:69]
	;; [unrolled: 1-line block ×4, first 2 shown]
	v_add_f64 v[62:63], v[70:71], v[66:67]
	v_add_f64 v[64:65], v[76:77], v[68:69]
	;; [unrolled: 1-line block ×4, first 2 shown]
	v_add_u32_e32 v70, 0x3800, v86
	v_add_f64 v[66:67], v[62:63], -v[64:65]
	v_add_f64 v[62:63], v[64:65], v[62:63]
	v_add_f64 v[68:69], v[58:59], -v[60:61]
	v_add_f64 v[58:59], v[60:61], v[58:59]
	v_add_f64 v[60:61], v[72:73], -v[74:75]
	v_add_u32_e32 v64, 0x3000, v86
	v_add_u32_e32 v65, 0x3400, v86
	ds_write2_b64 v64, v[9:10], v[45:46] offset0:228 offset1:240
	ds_write2_b64 v65, v[62:63], v[68:69] offset0:124 offset1:136
	;; [unrolled: 1-line block ×3, first 2 shown]
	ds_write_b64 v86, v[60:61] offset:14688
.LBB0_6:
	s_or_b64 exec, exec, s[16:17]
	v_add_f64 v[3:4], v[3:4], v[7:8]
	v_add_f64 v[7:8], v[19:20], v[27:28]
	;; [unrolled: 1-line block ×5, first 2 shown]
	v_add_f64 v[1:2], v[1:2], -v[5:6]
	v_add_f64 v[5:6], v[17:18], -v[25:26]
	;; [unrolled: 1-line block ×4, first 2 shown]
	v_add_f64 v[23:24], v[7:8], v[3:4]
	v_add_f64 v[17:18], v[29:30], -v[37:38]
	v_add_f64 v[25:26], v[51:52], v[55:56]
	v_add_f64 v[27:28], v[53:54], -v[49:50]
	v_add_f64 v[29:30], v[7:8], -v[3:4]
	;; [unrolled: 1-line block ×4, first 2 shown]
	v_add_f64 v[33:34], v[19:20], v[15:16]
	v_add_f64 v[9:10], v[9:10], v[23:24]
	;; [unrolled: 1-line block ×3, first 2 shown]
	v_add_f64 v[31:32], v[21:22], -v[5:6]
	v_add_f64 v[5:6], v[5:6], -v[1:2]
	;; [unrolled: 1-line block ×3, first 2 shown]
	v_mul_f64 v[3:4], v[3:4], s[26:27]
	v_mul_f64 v[35:36], v[7:8], s[20:21]
	v_add_f64 v[33:34], v[25:26], v[33:34]
	v_add_f64 v[54:55], v[11:12], v[9:10]
	v_add_f64 v[11:12], v[15:16], -v[25:26]
	v_add_f64 v[21:22], v[1:2], -v[21:22]
	v_add_f64 v[1:2], v[23:24], v[1:2]
	v_mul_f64 v[23:24], v[31:32], s[18:19]
	v_mul_f64 v[31:32], v[5:6], s[30:31]
	v_fma_f64 v[7:8], v[7:8], s[20:21], v[3:4]
	v_fma_f64 v[35:36], v[29:30], s[38:39], -v[35:36]
	v_fma_f64 v[3:4], v[29:30], s[36:37], -v[3:4]
	v_add_f64 v[41:42], v[25:26], -v[19:20]
	v_add_f64 v[25:26], v[27:28], v[17:18]
	v_add_f64 v[39:40], v[27:28], -v[17:18]
	v_add_f64 v[27:28], v[47:48], v[33:34]
	v_mul_f64 v[37:38], v[11:12], s[26:27]
	v_mul_f64 v[29:30], v[43:44], s[28:29]
	v_fma_f64 v[9:10], v[9:10], s[24:25], v[54:55]
	v_fma_f64 v[49:50], v[21:22], s[28:29], v[23:24]
	v_fma_f64 v[5:6], v[5:6], s[30:31], -v[23:24]
	v_fma_f64 v[11:12], v[21:22], s[34:35], -v[31:32]
	v_add_f64 v[43:44], v[25:26], v[13:14]
	v_fma_f64 v[31:32], v[33:34], s[24:25], v[27:28]
	v_fma_f64 v[23:24], v[41:42], s[20:21], v[37:38]
	;; [unrolled: 1-line block ×3, first 2 shown]
	v_add_f64 v[7:8], v[7:8], v[9:10]
	v_add_f64 v[21:22], v[35:36], v[9:10]
	;; [unrolled: 1-line block ×3, first 2 shown]
	v_fma_f64 v[9:10], v[1:2], s[22:23], v[49:50]
	v_fma_f64 v[11:12], v[1:2], s[22:23], v[11:12]
	;; [unrolled: 1-line block ×3, first 2 shown]
	v_add_f64 v[33:34], v[23:24], v[31:32]
	v_fma_f64 v[35:36], v[43:44], s[22:23], v[25:26]
	s_waitcnt lgkmcnt(0)
	s_movk_i32 s9, 0xfdc0
	v_lshlrev_b32_e32 v47, 3, v82
	v_add_f64 v[58:59], v[7:8], -v[9:10]
	v_add_f64 v[60:61], v[3:4], -v[11:12]
	v_add_f64 v[62:63], v[1:2], v[21:22]
	v_add_f64 v[64:65], v[21:22], -v[1:2]
	v_mad_i32_i24 v1, v85, s9, v87
	v_add_f64 v[21:22], v[33:34], -v[35:36]
	v_add_u32_e32 v51, v1, v47
	v_add_u32_e32 v50, 0x7e0, v1
	;; [unrolled: 1-line block ×5, first 2 shown]
	v_add_f64 v[66:67], v[11:12], v[3:4]
	v_add_f64 v[68:69], v[9:10], v[7:8]
	s_barrier
	ds_read2_b64 v[9:12], v53 offset1:252
	ds_read2_b64 v[1:4], v48 offset1:252
	ds_read2_b64 v[5:8], v49 offset1:252
	ds_read_b64 v[23:24], v51
	ds_read_b64 v[25:26], v51 offset:14112
	v_add_u32_e32 v52, 0x7e0, v53
	s_waitcnt lgkmcnt(0)
	s_barrier
	ds_write2_b64 v86, v[54:55], v[58:59] offset1:12
	ds_write2_b64 v86, v[60:61], v[62:63] offset0:24 offset1:36
	ds_write2_b64 v86, v[64:65], v[66:67] offset0:48 offset1:60
	ds_write_b64 v86, v[68:69] offset:576
	s_and_saveexec_b64 s[16:17], s[2:3]
	s_cbranch_execz .LBB0_8
; %bb.7:
	v_mul_f64 v[41:42], v[41:42], s[20:21]
	v_add_f64 v[15:16], v[19:20], -v[15:16]
	v_mul_f64 v[39:40], v[39:40], s[18:19]
	v_add_f64 v[13:14], v[17:18], -v[13:14]
	s_mov_b32 s3, 0x3fe77f67
	s_mov_b32 s2, 0x5476071b
	v_mul_f64 v[19:20], v[43:44], s[22:23]
	v_fma_f64 v[17:18], v[15:16], s[2:3], -v[41:42]
	s_mov_b32 s3, 0xbfe77f67
	v_fma_f64 v[15:16], v[15:16], s[2:3], -v[37:38]
	s_mov_b32 s3, 0x3febfeb5
	s_mov_b32 s2, 0x429ad128
	v_fma_f64 v[37:38], v[13:14], s[2:3], -v[39:40]
	s_mov_b32 s3, 0xbfebfeb5
	v_fma_f64 v[13:14], v[13:14], s[2:3], -v[29:30]
	v_add_f64 v[17:18], v[17:18], v[31:32]
	v_add_f64 v[15:16], v[15:16], v[31:32]
	v_mul_u32_u24_e32 v31, 0x240, v84
	v_add3_u32 v31, v50, v31, v47
	v_add_f64 v[29:30], v[19:20], v[37:38]
	v_add_f64 v[13:14], v[19:20], v[13:14]
	;; [unrolled: 1-line block ×3, first 2 shown]
	v_add_f64 v[17:18], v[17:18], -v[29:30]
	v_add_f64 v[29:30], v[15:16], -v[13:14]
	v_add_f64 v[13:14], v[13:14], v[15:16]
	v_add_f64 v[15:16], v[35:36], v[33:34]
	ds_write2_b64 v31, v[27:28], v[21:22] offset1:12
	ds_write2_b64 v31, v[29:30], v[19:20] offset0:24 offset1:36
	ds_write2_b64 v31, v[17:18], v[13:14] offset0:48 offset1:60
	ds_write_b64 v31, v[15:16] offset:576
.LBB0_8:
	s_or_b64 exec, exec, s[16:17]
	v_mul_lo_u16_e32 v13, 37, v85
	v_mov_b32_e32 v14, 7
	v_mul_lo_u16_sdwa v13, v13, v14 dst_sel:DWORD dst_unused:UNUSED_PAD src0_sel:BYTE_1 src1_sel:DWORD
	v_sub_u16_e32 v50, v85, v13
	v_mul_u32_u24_sdwa v13, v50, v14 dst_sel:DWORD dst_unused:UNUSED_PAD src0_sel:BYTE_0 src1_sel:DWORD
	v_lshlrev_b32_e32 v17, 4, v13
	s_waitcnt lgkmcnt(0)
	s_barrier
	global_load_dwordx4 v[33:36], v17, s[6:7]
	global_load_dwordx4 v[37:40], v17, s[6:7] offset:16
	global_load_dwordx4 v[41:44], v17, s[6:7] offset:32
	;; [unrolled: 1-line block ×6, first 2 shown]
	ds_read_b64 v[29:30], v51
	ds_read_b64 v[27:28], v52
	ds_read2_b64 v[17:20], v48 offset1:252
	ds_read2_b64 v[70:73], v49 offset1:252
	ds_read_b64 v[48:49], v53
	ds_read_b64 v[55:56], v51 offset:14112
	s_mov_b32 s2, 0x667f3bcd
	s_movk_i32 s9, 0x30d
	s_mov_b32 s3, 0x3fe6a09e
	v_mov_b32_e32 v90, 56
	s_mov_b32 s17, 0xbfe6a09e
	s_mov_b32 s16, s2
	v_add_u32_e32 v54, 0x1500, v51
	s_waitcnt vmcnt(0) lgkmcnt(0)
	s_barrier
	s_load_dwordx2 s[4:5], s[4:5], 0x60
	v_mul_f64 v[31:32], v[48:49], v[35:36]
	v_mul_f64 v[74:75], v[27:28], v[39:40]
	;; [unrolled: 1-line block ×13, first 2 shown]
	v_fma_f64 v[9:10], v[9:10], v[33:34], -v[31:32]
	v_fma_f64 v[11:12], v[11:12], v[37:38], -v[74:75]
	v_fma_f64 v[31:32], v[27:28], v[37:38], v[39:40]
	v_fma_f64 v[27:28], v[1:2], v[41:42], -v[76:77]
	v_fma_f64 v[17:18], v[17:18], v[41:42], v[43:44]
	v_fma_f64 v[1:2], v[3:4], v[13:14], -v[78:79]
	v_fma_f64 v[7:8], v[7:8], v[62:63], -v[86:87]
	;; [unrolled: 1-line block ×3, first 2 shown]
	v_fma_f64 v[37:38], v[72:73], v[62:63], v[64:65]
	v_fma_f64 v[25:26], v[25:26], v[66:67], -v[88:89]
	v_fma_f64 v[39:40], v[55:56], v[66:67], v[68:69]
	v_fma_f64 v[35:36], v[48:49], v[33:34], v[35:36]
	;; [unrolled: 1-line block ×3, first 2 shown]
	v_add_f64 v[43:44], v[23:24], -v[1:2]
	v_add_f64 v[1:2], v[11:12], -v[7:8]
	;; [unrolled: 1-line block ×6, first 2 shown]
	v_add_u32_e32 v55, 0x2a00, v51
	v_add_f64 v[41:42], v[35:36], -v[41:42]
	v_fma_f64 v[23:24], v[23:24], 2.0, -v[43:44]
	v_fma_f64 v[11:12], v[11:12], 2.0, -v[1:2]
	;; [unrolled: 1-line block ×3, first 2 shown]
	v_add_f64 v[48:49], v[43:44], -v[33:34]
	v_fma_f64 v[27:28], v[27:28], 2.0, -v[7:8]
	v_add_f64 v[60:61], v[5:6], -v[25:26]
	v_fma_f64 v[17:18], v[17:18], 2.0, -v[25:26]
	v_fma_f64 v[37:38], v[35:36], 2.0, -v[41:42]
	v_add_f64 v[7:8], v[41:42], v[7:8]
	v_add_f64 v[11:12], v[23:24], -v[11:12]
	v_mul_u32_u24_sdwa v25, v0, s9 dst_sel:DWORD dst_unused:UNUSED_PAD src0_sel:WORD_0 src1_sel:DWORD
	v_fma_f64 v[43:44], v[43:44], 2.0, -v[48:49]
	v_add_f64 v[35:36], v[9:10], -v[27:28]
	v_fma_f64 v[5:6], v[5:6], 2.0, -v[60:61]
	v_mul_lo_u16_sdwa v56, v25, v90 dst_sel:DWORD dst_unused:UNUSED_PAD src0_sel:WORD_1 src1_sel:DWORD
	v_add_f64 v[39:40], v[37:38], -v[17:18]
	v_fma_f64 v[25:26], v[60:61], s[2:3], v[48:49]
	v_fma_f64 v[27:28], v[41:42], 2.0, -v[7:8]
	v_fma_f64 v[23:24], v[23:24], 2.0, -v[11:12]
	v_or_b32_sdwa v17, v56, v50 dst_sel:DWORD dst_unused:UNUSED_PAD src0_sel:DWORD src1_sel:BYTE_0
	v_fma_f64 v[9:10], v[9:10], 2.0, -v[35:36]
	v_fma_f64 v[41:42], v[5:6], s[16:17], v[43:44]
	v_mul_u32_u24_e32 v50, 0x60, v17
	v_add_f64 v[17:18], v[11:12], -v[39:40]
	v_fma_f64 v[25:26], v[7:8], s[16:17], v[25:26]
	v_add3_u32 v56, 0, v50, v47
	v_add_u32_e32 v59, 0xc00, v56
	v_add_u32_e32 v58, 0x800, v56
	v_add_f64 v[9:10], v[23:24], -v[9:10]
	v_fma_f64 v[62:63], v[27:28], s[16:17], v[41:42]
	v_mul_f64 v[41:42], v[5:6], s[2:3]
	v_fma_f64 v[11:12], v[11:12], 2.0, -v[17:18]
	v_fma_f64 v[64:65], v[48:49], 2.0, -v[25:26]
	v_mul_f64 v[49:50], v[7:8], s[2:3]
	v_mul_f64 v[47:48], v[27:28], s[2:3]
	v_fma_f64 v[23:24], v[23:24], 2.0, -v[9:10]
	v_fma_f64 v[66:67], v[43:44], 2.0, -v[62:63]
	v_mul_f64 v[43:44], v[60:61], s[2:3]
	ds_write2_b64 v59, v[17:18], v[25:26] offset0:120 offset1:204
	ds_write2_b64 v56, v[11:12], v[64:65] offset0:168 offset1:252
	;; [unrolled: 1-line block ×3, first 2 shown]
	ds_write2_b64 v56, v[23:24], v[66:67] offset1:84
	s_waitcnt lgkmcnt(0)
	s_barrier
	ds_read2_b64 v[9:12], v54 offset1:252
	ds_read2_b64 v[5:8], v55 offset1:252
	ds_read_b64 v[27:28], v51
	ds_read_b64 v[23:24], v53
	s_movk_i32 s2, 0xa8
	v_cmp_gt_u32_e64 s[2:3], s2, v0
	s_and_saveexec_b64 s[16:17], s[2:3]
	s_cbranch_execz .LBB0_10
; %bb.9:
	ds_read_b64 v[25:26], v51 offset:9408
	ds_read_b64 v[17:18], v52
	ds_read_b64 v[45:46], v51 offset:14784
.LBB0_10:
	s_or_b64 exec, exec, s[16:17]
	v_mul_f64 v[3:4], v[3:4], v[15:16]
	s_waitcnt lgkmcnt(0)
	s_barrier
	v_fma_f64 v[3:4], v[19:20], v[13:14], v[3:4]
	v_fma_f64 v[13:14], v[31:32], 2.0, -v[33:34]
	v_add_f64 v[3:4], v[29:30], -v[3:4]
	v_fma_f64 v[15:16], v[29:30], 2.0, -v[3:4]
	v_add_f64 v[1:2], v[3:4], v[1:2]
	v_fma_f64 v[29:30], v[37:38], 2.0, -v[39:40]
	v_add_f64 v[13:14], v[15:16], -v[13:14]
	v_fma_f64 v[3:4], v[3:4], 2.0, -v[1:2]
	v_add_f64 v[31:32], v[1:2], v[49:50]
	v_fma_f64 v[15:16], v[15:16], 2.0, -v[13:14]
	v_add_f64 v[37:38], v[3:4], -v[47:48]
	v_add_f64 v[19:20], v[13:14], v[35:36]
	v_add_f64 v[33:34], v[43:44], v[31:32]
	v_add_f64 v[29:30], v[15:16], -v[29:30]
	v_add_f64 v[31:32], v[41:42], v[37:38]
	v_fma_f64 v[13:14], v[13:14], 2.0, -v[19:20]
	v_fma_f64 v[1:2], v[1:2], 2.0, -v[33:34]
	;; [unrolled: 1-line block ×4, first 2 shown]
	ds_write2_b64 v59, v[19:20], v[33:34] offset0:120 offset1:204
	ds_write2_b64 v56, v[13:14], v[1:2] offset0:168 offset1:252
	;; [unrolled: 1-line block ×3, first 2 shown]
	ds_write2_b64 v56, v[15:16], v[3:4] offset1:84
	s_waitcnt lgkmcnt(0)
	s_barrier
	ds_read2_b64 v[13:16], v54 offset1:252
	ds_read2_b64 v[1:4], v55 offset1:252
	ds_read_b64 v[31:32], v51
	ds_read_b64 v[29:30], v53
	s_and_saveexec_b64 s[16:17], s[2:3]
	s_cbranch_execz .LBB0_12
; %bb.11:
	ds_read_b64 v[33:34], v51 offset:9408
	ds_read_b64 v[19:20], v52
	ds_read_b64 v[21:22], v51 offset:14784
.LBB0_12:
	s_or_b64 exec, exec, s[16:17]
	s_movk_i32 s2, 0x2a0
	v_subrev_u32_e32 v36, 56, v85
	v_cmp_gt_u32_e64 s[2:3], s2, v0
	v_cndmask_b32_e64 v37, v36, v85, s[2:3]
	v_lshlrev_b32_e32 v43, 1, v37
	v_mov_b32_e32 v44, 0
	v_lshlrev_b64 v[38:39], 4, v[43:44]
	v_mov_b32_e32 v36, s7
	v_add_co_u32_e64 v51, s[2:3], s6, v38
	v_addc_co_u32_e64 v52, s[2:3], v36, v39, s[2:3]
	s_movk_i32 s2, 0x1a4
	v_subrev_u32_e32 v38, 35, v85
	v_cmp_gt_u32_e64 s[2:3], s2, v0
	v_add_u32_e32 v35, 42, v85
	v_cndmask_b32_e64 v85, v38, v84, s[2:3]
	v_lshlrev_b32_e32 v43, 1, v85
	v_lshlrev_b64 v[43:44], 4, v[43:44]
	global_load_dwordx4 v[39:42], v[51:52], off offset:800
	global_load_dwordx4 v[47:50], v[51:52], off offset:784
	v_add_co_u32_e64 v43, s[2:3], s6, v43
	v_addc_co_u32_e64 v44, s[2:3], v36, v44, s[2:3]
	global_load_dwordx4 v[51:54], v[43:44], off offset:800
	global_load_dwordx4 v[58:61], v[43:44], off offset:784
	v_mul_lo_u16_e32 v36, 0x93, v35
	v_lshrrev_b16_e32 v36, 13, v36
	v_mul_lo_u16_e32 v38, 56, v36
	v_sub_u16_e32 v38, v35, v38
	v_and_b32_e32 v38, 0xff, v38
	v_lshlrev_b32_e32 v43, 5, v38
	global_load_dwordx4 v[62:65], v43, s[6:7] offset:784
	global_load_dwordx4 v[66:69], v43, s[6:7] offset:800
	v_mul_lo_u32 v78, v37, v57
	s_mul_i32 s9, s10, s14
	s_add_i32 s10, 0, 0x3f00
	v_mul_lo_u32 v89, v57, 56
	v_and_b32_e32 v43, 31, v78
	v_lshrrev_b32_e32 v44, 1, v78
	v_lshl_add_u32 v43, v43, 4, 0
	v_and_b32_e32 v44, 0x1f0, v44
	v_add_u32_e32 v44, s10, v44
	ds_read_b128 v[70:73], v43 offset:16128
	ds_read_b128 v[74:77], v44 offset:512
	v_add_u32_e32 v86, v78, v89
	s_mul_i32 s6, s8, s15
	s_mov_b32 s2, 0xe8584caa
	s_mov_b32 s3, 0x3febb67a
	s_waitcnt lgkmcnt(0)
	v_mul_f64 v[43:44], v[72:73], v[76:77]
	v_mul_f64 v[55:56], v[70:71], v[76:77]
	v_lshrrev_b32_e32 v76, 6, v78
	v_and_b32_e32 v76, 0x1f0, v76
	v_and_b32_e32 v77, 31, v86
	v_add_u32_e32 v87, s10, v76
	v_lshl_add_u32 v88, v77, 4, 0
	s_mov_b32 s7, 0xbfebb67a
	v_fma_f64 v[43:44], v[70:71], v[74:75], -v[43:44]
	v_fma_f64 v[55:56], v[72:73], v[74:75], v[55:56]
	s_add_i32 s9, s9, s6
	s_mov_b32 s6, s2
	v_mul_lo_u32 v85, v85, v57
	s_lshl_b32 s9, s9, 4
	s_waitcnt vmcnt(5)
	v_mul_f64 v[72:73], v[1:2], v[41:42]
	s_waitcnt vmcnt(4)
	v_mul_f64 v[70:71], v[13:14], v[49:50]
	v_mul_f64 v[49:50], v[9:10], v[49:50]
	v_mul_f64 v[41:42], v[5:6], v[41:42]
	s_waitcnt vmcnt(3)
	v_mul_f64 v[76:77], v[3:4], v[53:54]
	s_waitcnt vmcnt(2)
	v_mul_f64 v[74:75], v[15:16], v[60:61]
	v_mul_f64 v[60:61], v[11:12], v[60:61]
	;; [unrolled: 1-line block ×3, first 2 shown]
	v_fma_f64 v[9:10], v[9:10], v[47:48], -v[70:71]
	v_fma_f64 v[13:14], v[13:14], v[47:48], v[49:50]
	v_fma_f64 v[5:6], v[5:6], v[39:40], -v[72:73]
	s_waitcnt vmcnt(1)
	v_mul_f64 v[78:79], v[33:34], v[64:65]
	s_waitcnt vmcnt(0)
	v_mul_f64 v[80:81], v[21:22], v[68:69]
	v_mul_f64 v[68:69], v[45:46], v[68:69]
	v_fma_f64 v[11:12], v[11:12], v[58:59], -v[74:75]
	v_fma_f64 v[15:16], v[15:16], v[58:59], v[60:61]
	v_fma_f64 v[3:4], v[3:4], v[51:52], v[53:54]
	;; [unrolled: 1-line block ×3, first 2 shown]
	v_fma_f64 v[7:8], v[7:8], v[51:52], -v[76:77]
	v_add_f64 v[49:50], v[31:32], v[13:14]
	v_fma_f64 v[39:40], v[45:46], v[66:67], -v[80:81]
	v_fma_f64 v[41:42], v[21:22], v[66:67], v[68:69]
	v_add_f64 v[21:22], v[27:28], v[9:10]
	v_add_f64 v[45:46], v[9:10], v[5:6]
	;; [unrolled: 1-line block ×3, first 2 shown]
	v_add_f64 v[58:59], v[15:16], -v[3:4]
	v_add_f64 v[60:61], v[29:30], v[15:16]
	v_add_f64 v[15:16], v[15:16], v[3:4]
	v_mul_f64 v[64:65], v[25:26], v[64:65]
	v_fma_f64 v[25:26], v[25:26], v[62:63], -v[78:79]
	v_add_f64 v[47:48], v[13:14], -v[1:2]
	v_add_f64 v[13:14], v[13:14], v[1:2]
	v_add_f64 v[53:54], v[11:12], v[7:8]
	v_add_f64 v[9:10], v[9:10], -v[5:6]
	v_add_f64 v[11:12], v[11:12], -v[7:8]
	v_add_f64 v[70:71], v[21:22], v[5:6]
	v_fma_f64 v[5:6], v[45:46], -0.5, v[27:28]
	v_add_f64 v[45:46], v[49:50], v[1:2]
	v_add_f64 v[49:50], v[51:52], v[7:8]
	;; [unrolled: 1-line block ×3, first 2 shown]
	v_fma_f64 v[3:4], v[15:16], -0.5, v[29:30]
	v_fma_f64 v[33:34], v[33:34], v[62:63], v[64:65]
	v_add_f64 v[62:63], v[17:18], v[25:26]
	v_add_f64 v[64:65], v[25:26], v[39:40]
	v_fma_f64 v[13:14], v[13:14], -0.5, v[31:32]
	v_fma_f64 v[7:8], v[53:54], -0.5, v[23:24]
	v_fma_f64 v[53:54], v[47:48], s[2:3], v[5:6]
	v_fma_f64 v[47:48], v[47:48], s[6:7], v[5:6]
	;; [unrolled: 1-line block ×4, first 2 shown]
	v_lshrrev_b32_e32 v11, 1, v86
	v_and_b32_e32 v11, 0x1f0, v11
	v_add_u32_e32 v11, s10, v11
	v_add_f64 v[1:2], v[62:63], v[39:40]
	v_fma_f64 v[21:22], v[64:65], -0.5, v[17:18]
	v_fma_f64 v[60:61], v[9:10], s[6:7], v[13:14]
	v_fma_f64 v[62:63], v[9:10], s[2:3], v[13:14]
	;; [unrolled: 1-line block ×4, first 2 shown]
	ds_read_b128 v[3:6], v87 offset:1024
	ds_read_b128 v[7:10], v88 offset:16128
	;; [unrolled: 1-line block ×3, first 2 shown]
	v_lshrrev_b32_e32 v15, 6, v86
	v_and_b32_e32 v15, 0x1f0, v15
	v_add_u32_e32 v15, s10, v15
	ds_read_b128 v[15:18], v15 offset:1024
	v_add_f64 v[68:69], v[33:34], v[41:42]
	s_waitcnt lgkmcnt(1)
	v_mul_f64 v[23:24], v[9:10], v[13:14]
	v_add_f64 v[66:67], v[33:34], -v[41:42]
	v_add_u32_e32 v58, v86, v89
	v_add_f64 v[27:28], v[19:20], v[33:34]
	v_mul_f64 v[31:32], v[55:56], v[5:6]
	v_mul_f64 v[33:34], v[43:44], v[5:6]
	;; [unrolled: 1-line block ×3, first 2 shown]
	v_lshrrev_b32_e32 v6, 1, v58
	v_and_b32_e32 v5, 31, v58
	v_and_b32_e32 v6, 0x1f0, v6
	v_fma_f64 v[29:30], v[68:69], -0.5, v[19:20]
	v_add_f64 v[25:26], v[25:26], -v[39:40]
	v_fma_f64 v[39:40], v[7:8], v[11:12], -v[23:24]
	v_lshl_add_u32 v5, v5, 4, 0
	v_add_u32_e32 v19, s10, v6
	v_fma_f64 v[78:79], v[66:67], s[2:3], v[21:22]
	v_fma_f64 v[66:67], v[66:67], s[6:7], v[21:22]
	ds_read_b128 v[5:8], v5 offset:16128
	ds_read_b128 v[19:22], v19 offset:512
	v_fma_f64 v[9:10], v[9:10], v[11:12], v[13:14]
	v_fma_f64 v[23:24], v[3:4], v[55:56], v[33:34]
	s_waitcnt lgkmcnt(2)
	v_mul_f64 v[11:12], v[39:40], v[17:18]
	v_fma_f64 v[31:32], v[3:4], v[43:44], -v[31:32]
	s_waitcnt lgkmcnt(0)
	v_mul_f64 v[13:14], v[7:8], v[21:22]
	v_lshrrev_b32_e32 v3, 6, v58
	v_and_b32_e32 v3, 0x1f0, v3
	v_and_b32_e32 v4, 31, v85
	v_mul_f64 v[17:18], v[9:10], v[17:18]
	v_add_u32_e32 v3, s10, v3
	v_fma_f64 v[43:44], v[15:16], v[9:10], v[11:12]
	v_lshl_add_u32 v9, v4, 4, 0
	v_fma_f64 v[55:56], v[5:6], v[19:20], -v[13:14]
	v_mul_f64 v[13:14], v[5:6], v[21:22]
	v_lshrrev_b32_e32 v21, 1, v85
	v_and_b32_e32 v21, 0x1f0, v21
	v_add_u32_e32 v21, s10, v21
	v_add_f64 v[33:34], v[27:28], v[41:42]
	v_fma_f64 v[68:69], v[25:26], s[6:7], v[29:30]
	v_fma_f64 v[80:81], v[25:26], s[2:3], v[29:30]
	v_mul_f64 v[29:30], v[45:46], v[23:24]
	v_mul_f64 v[41:42], v[70:71], v[23:24]
	ds_read_b128 v[3:6], v3 offset:1024
	ds_read_b128 v[9:12], v9 offset:16128
	;; [unrolled: 1-line block ×3, first 2 shown]
	v_lshrrev_b32_e32 v25, 6, v85
	v_and_b32_e32 v25, 0x1f0, v25
	v_add_u32_e32 v25, s10, v25
	ds_read_b128 v[25:28], v25 offset:1024
	s_waitcnt lgkmcnt(1)
	v_mul_f64 v[58:59], v[11:12], v[23:24]
	v_fma_f64 v[29:30], v[70:71], v[31:32], -v[29:30]
	v_fma_f64 v[31:32], v[45:46], v[31:32], v[41:42]
	v_fma_f64 v[19:20], v[7:8], v[19:20], v[13:14]
	v_mul_f64 v[23:24], v[9:10], v[23:24]
	v_fma_f64 v[17:18], v[15:16], v[39:40], -v[17:18]
	v_mul_f64 v[39:40], v[60:61], v[43:44]
	v_mul_f64 v[41:42], v[53:54], v[43:44]
	v_fma_f64 v[45:46], v[9:10], v[21:22], -v[58:59]
	v_add_u32_e32 v58, v85, v89
	v_lshrrev_b32_e32 v8, 1, v58
	v_and_b32_e32 v7, 31, v58
	v_and_b32_e32 v8, 0x1f0, v8
	v_lshl_add_u32 v7, v7, 4, 0
	v_add_u32_e32 v13, s10, v8
	ds_read_b128 v[7:10], v7 offset:16128
	ds_read_b128 v[13:16], v13 offset:512
	v_mul_f64 v[43:44], v[55:56], v[5:6]
	v_mul_f64 v[5:6], v[19:20], v[5:6]
	v_fma_f64 v[11:12], v[11:12], v[21:22], v[23:24]
	s_movk_i32 s2, 0x29f
	s_waitcnt lgkmcnt(0)
	v_mul_f64 v[23:24], v[7:8], v[15:16]
	v_mul_f64 v[21:22], v[9:10], v[15:16]
	v_fma_f64 v[15:16], v[53:54], v[17:18], -v[39:40]
	v_fma_f64 v[17:18], v[60:61], v[17:18], v[41:42]
	v_fma_f64 v[43:44], v[3:4], v[19:20], v[43:44]
	v_mul_f64 v[19:20], v[45:46], v[27:28]
	v_fma_f64 v[39:40], v[3:4], v[55:56], -v[5:6]
	v_lshrrev_b32_e32 v3, 6, v58
	v_fma_f64 v[23:24], v[9:10], v[13:14], v[23:24]
	v_and_b32_e32 v3, 0x1f0, v3
	v_add_u32_e32 v3, s10, v3
	ds_read_b128 v[3:6], v3 offset:1024
	v_fma_f64 v[55:56], v[7:8], v[13:14], -v[21:22]
	v_fma_f64 v[53:54], v[25:26], v[11:12], v[19:20]
	v_add_u32_e32 v19, v58, v89
	v_mul_f64 v[27:28], v[11:12], v[27:28]
	v_and_b32_e32 v7, 31, v19
	v_lshrrev_b32_e32 v11, 1, v19
	v_lshl_add_u32 v7, v7, 4, 0
	ds_read_b128 v[7:10], v7 offset:16128
	v_and_b32_e32 v11, 0x1f0, v11
	s_waitcnt lgkmcnt(1)
	v_mul_f64 v[58:59], v[23:24], v[5:6]
	v_add_u32_e32 v11, s10, v11
	ds_read_b128 v[11:14], v11 offset:512
	v_lshrrev_b32_e32 v19, 6, v19
	v_mul_f64 v[5:6], v[55:56], v[5:6]
	v_and_b32_e32 v19, 0x1f0, v19
	v_add_u32_e32 v19, s10, v19
	ds_read_b128 v[19:22], v19 offset:1024
	s_waitcnt lgkmcnt(1)
	v_mul_f64 v[60:61], v[9:10], v[13:14]
	v_fma_f64 v[70:71], v[3:4], v[55:56], -v[58:59]
	v_mul_lo_u32 v59, v38, v57
	v_mul_f64 v[41:42], v[62:63], v[43:44]
	v_fma_f64 v[55:56], v[3:4], v[23:24], v[5:6]
	v_fma_f64 v[27:28], v[25:26], v[45:46], -v[27:28]
	v_and_b32_e32 v3, 31, v59
	v_lshrrev_b32_e32 v4, 1, v59
	v_lshl_add_u32 v3, v3, 4, 0
	v_and_b32_e32 v4, 0x1f0, v4
	v_fma_f64 v[60:61], v[7:8], v[11:12], -v[60:61]
	v_mul_f64 v[13:14], v[7:8], v[13:14]
	v_add_u32_e32 v7, s10, v4
	ds_read_b128 v[3:6], v3 offset:16128
	ds_read_b128 v[23:26], v7 offset:512
	v_mul_f64 v[45:46], v[51:52], v[53:54]
	v_mul_f64 v[53:54], v[49:50], v[53:54]
	;; [unrolled: 1-line block ×4, first 2 shown]
	s_waitcnt lgkmcnt(0)
	v_mul_f64 v[85:86], v[5:6], v[25:26]
	v_fma_f64 v[7:8], v[47:48], v[39:40], -v[41:42]
	v_fma_f64 v[41:42], v[9:10], v[11:12], v[13:14]
	v_mul_f64 v[47:48], v[60:61], v[21:22]
	v_fma_f64 v[11:12], v[49:50], v[27:28], -v[45:46]
	v_fma_f64 v[13:14], v[51:52], v[27:28], v[53:54]
	v_add_u32_e32 v52, v59, v89
	v_fma_f64 v[9:10], v[62:63], v[39:40], v[43:44]
	v_fma_f64 v[85:86], v[3:4], v[23:24], -v[85:86]
	v_mul_f64 v[3:4], v[3:4], v[25:26]
	v_lshrrev_b32_e32 v25, 6, v59
	v_lshrrev_b32_e32 v44, 1, v52
	v_and_b32_e32 v25, 0x1f0, v25
	v_and_b32_e32 v26, 31, v52
	;; [unrolled: 1-line block ×3, first 2 shown]
	v_add_u32_e32 v25, s10, v25
	v_lshl_add_u32 v40, v26, 4, 0
	v_add_u32_e32 v44, s10, v44
	v_fma_f64 v[38:39], v[64:65], v[70:71], -v[57:58]
	v_mul_f64 v[62:63], v[64:65], v[55:56]
	v_mul_f64 v[21:22], v[41:42], v[21:22]
	v_fma_f64 v[64:65], v[19:20], v[41:42], v[47:48]
	ds_read_b128 v[25:28], v25 offset:1024
	ds_read_b128 v[40:43], v40 offset:16128
	ds_read_b128 v[44:47], v44 offset:512
	v_lshrrev_b32_e32 v48, 6, v52
	v_and_b32_e32 v48, 0x1f0, v48
	v_add_u32_e32 v48, s10, v48
	ds_read_b128 v[48:51], v48 offset:1024
	v_add_u32_e32 v89, v52, v89
	s_waitcnt lgkmcnt(1)
	v_mul_f64 v[87:88], v[42:43], v[46:47]
	v_lshrrev_b32_e32 v53, 1, v89
	v_and_b32_e32 v52, 31, v89
	v_and_b32_e32 v53, 0x1f0, v53
	v_lshl_add_u32 v52, v52, 4, 0
	v_add_u32_e32 v56, s10, v53
	ds_read_b128 v[52:55], v52 offset:16128
	ds_read_b128 v[56:59], v56 offset:512
	v_fma_f64 v[3:4], v[5:6], v[23:24], v[3:4]
	v_mul_f64 v[5:6], v[85:86], v[27:28]
	v_mul_f64 v[23:24], v[40:41], v[46:47]
	v_fma_f64 v[46:47], v[40:41], v[44:45], -v[87:88]
	s_waitcnt lgkmcnt(0)
	v_mul_f64 v[87:88], v[54:55], v[58:59]
	v_fma_f64 v[40:41], v[74:75], v[70:71], v[62:63]
	v_fma_f64 v[21:22], v[19:20], v[60:61], -v[21:22]
	v_cmp_lt_u32_e64 s[2:3], s2, v0
	v_mul_f64 v[27:28], v[3:4], v[27:28]
	v_fma_f64 v[60:61], v[25:26], v[3:4], v[5:6]
	v_fma_f64 v[23:24], v[42:43], v[44:45], v[23:24]
	v_mul_f64 v[44:45], v[52:53], v[58:59]
	v_fma_f64 v[62:63], v[52:53], v[56:57], -v[87:88]
	v_lshrrev_b32_e32 v3, 6, v89
	v_and_b32_e32 v3, 0x1f0, v3
	v_add_u32_e32 v3, s10, v3
	ds_read_b128 v[3:6], v3 offset:1024
	v_mul_f64 v[42:43], v[46:47], v[50:51]
	v_mul_f64 v[50:51], v[23:24], v[50:51]
	v_fma_f64 v[44:45], v[54:55], v[56:57], v[44:45]
	v_fma_f64 v[25:26], v[25:26], v[85:86], -v[27:28]
	s_waitcnt lgkmcnt(0)
	v_mul_f64 v[52:53], v[62:63], v[5:6]
	v_mul_f64 v[27:28], v[33:34], v[60:61]
	;; [unrolled: 1-line block ×3, first 2 shown]
	s_mov_b32 s7, 0x20000
	v_fma_f64 v[23:24], v[48:49], v[23:24], v[42:43]
	v_fma_f64 v[46:47], v[48:49], v[46:47], -v[50:51]
	v_mul_f64 v[5:6], v[44:45], v[5:6]
	s_mov_b32 s6, -2
	v_fma_f64 v[52:53], v[3:4], v[44:45], v[52:53]
	v_mul_f64 v[19:20], v[76:77], v[64:65]
	v_mul_f64 v[42:43], v[72:73], v[64:65]
	s_movk_i32 s10, 0x70
	v_mul_f64 v[48:49], v[68:69], v[23:24]
	v_mul_f64 v[50:51], v[78:79], v[23:24]
	v_fma_f64 v[23:24], v[1:2], v[25:26], -v[27:28]
	v_fma_f64 v[3:4], v[3:4], v[62:63], -v[5:6]
	v_mul_f64 v[1:2], v[80:81], v[52:53]
	v_mul_f64 v[5:6], v[66:67], v[52:53]
	v_mov_b32_e32 v28, 0xa8
	v_cndmask_b32_e64 v28, 0, v28, s[2:3]
	v_add_u32_e32 v28, v28, v37
	v_fma_f64 v[25:26], v[33:34], v[25:26], v[54:55]
	v_mul_lo_u32 v27, s8, v82
	v_mul_lo_u32 v33, s12, v28
	v_fma_f64 v[1:2], v[66:67], v[3:4], -v[1:2]
	v_fma_f64 v[3:4], v[80:81], v[3:4], v[5:6]
	v_add_u32_e32 v6, 56, v28
	v_mul_lo_u32 v6, s12, v6
	v_add_lshl_u32 v5, v27, v33, 4
	v_cndmask_b32_e64 v5, -1, v5, s[0:1]
	buffer_store_dwordx4 v[29:32], v5, s[4:7], s9 offen
	v_add_lshl_u32 v5, v27, v6, 4
	v_cndmask_b32_e64 v5, -1, v5, s[0:1]
	s_movk_i32 s2, 0x1a3
	buffer_store_dwordx4 v[15:18], v5, s[4:7], s9 offen
	v_add_u32_e32 v5, 0x70, v28
	v_mov_b32_e32 v6, 0x70
	v_cmp_lt_u32_e64 s[2:3], s2, v0
	v_mul_lo_u32 v5, s12, v5
	v_cndmask_b32_e64 v6, 0, v6, s[2:3]
	v_add_u32_e32 v6, v6, v84
	v_mul_lo_u32 v15, s12, v6
	v_add_lshl_u32 v5, v27, v5, 4
	v_cndmask_b32_e64 v5, -1, v5, s[0:1]
	buffer_store_dwordx4 v[7:10], v5, s[4:7], s9 offen
	v_add_lshl_u32 v5, v27, v15, 4
	v_fma_f64 v[19:20], v[72:73], v[21:22], -v[19:20]
	v_fma_f64 v[21:22], v[76:77], v[21:22], v[42:43]
	v_cndmask_b32_e64 v5, -1, v5, s[0:1]
	v_add_u32_e32 v7, 56, v6
	buffer_store_dwordx4 v[11:14], v5, s[4:7], s9 offen
	v_add_u32_e32 v5, 0x70, v6
	v_mul_lo_u32 v7, s12, v7
	v_mul_lo_u32 v5, s12, v5
	s_movk_i32 s8, 0xa8
	v_cmp_gt_u32_e64 s[2:3], s8, v0
	v_add_lshl_u32 v6, v27, v7, 4
	v_add_lshl_u32 v5, v27, v5, 4
	v_cndmask_b32_e64 v6, -1, v6, s[0:1]
	v_cndmask_b32_e64 v5, -1, v5, s[0:1]
	buffer_store_dwordx4 v[38:41], v6, s[4:7], s9 offen
	buffer_store_dwordx4 v[19:22], v5, s[4:7], s9 offen
	v_mad_u32_u24 v5, v36, s10, v35
	s_movk_i32 s0, 0xa7
	v_mul_lo_u32 v6, s12, v5
	v_cmp_lt_u32_e64 s[0:1], s0, v0
	v_cndmask_b32_e64 v0, 0, 1, s[2:3]
	s_or_b64 vcc, s[0:1], vcc
	v_cndmask_b32_e32 v0, v83, v0, vcc
	v_and_b32_e32 v0, 1, v0
	v_add_lshl_u32 v6, v27, v6, 4
	v_cmp_eq_u32_e32 vcc, 1, v0
	v_fma_f64 v[42:43], v[78:79], v[46:47], -v[48:49]
	v_fma_f64 v[44:45], v[68:69], v[46:47], v[50:51]
	v_cndmask_b32_e32 v0, -1, v6, vcc
	v_add_u32_e32 v6, 56, v5
	buffer_store_dwordx4 v[23:26], v0, s[4:7], s9 offen
	v_add_u32_e32 v0, 0x70, v5
	v_mul_lo_u32 v6, s12, v6
	v_mul_lo_u32 v0, s12, v0
	v_add_lshl_u32 v5, v27, v6, 4
	v_add_lshl_u32 v0, v27, v0, 4
	v_cndmask_b32_e32 v5, -1, v5, vcc
	v_cndmask_b32_e32 v0, -1, v0, vcc
	buffer_store_dwordx4 v[42:45], v5, s[4:7], s9 offen
	buffer_store_dwordx4 v[1:4], v0, s[4:7], s9 offen
	s_endpgm
	.section	.rodata,"a",@progbits
	.p2align	6, 0x0
	.amdhsa_kernel fft_rtc_fwd_len168_factors_7_8_3_wgs_252_tpt_21_halfLds_dim2_dp_op_CI_CI_sbcc_twdbase5_3step_dirReg_intrinsicReadWrite
		.amdhsa_group_segment_fixed_size 0
		.amdhsa_private_segment_fixed_size 0
		.amdhsa_kernarg_size 104
		.amdhsa_user_sgpr_count 6
		.amdhsa_user_sgpr_private_segment_buffer 1
		.amdhsa_user_sgpr_dispatch_ptr 0
		.amdhsa_user_sgpr_queue_ptr 0
		.amdhsa_user_sgpr_kernarg_segment_ptr 1
		.amdhsa_user_sgpr_dispatch_id 0
		.amdhsa_user_sgpr_flat_scratch_init 0
		.amdhsa_user_sgpr_private_segment_size 0
		.amdhsa_uses_dynamic_stack 0
		.amdhsa_system_sgpr_private_segment_wavefront_offset 0
		.amdhsa_system_sgpr_workgroup_id_x 1
		.amdhsa_system_sgpr_workgroup_id_y 0
		.amdhsa_system_sgpr_workgroup_id_z 0
		.amdhsa_system_sgpr_workgroup_info 0
		.amdhsa_system_vgpr_workitem_id 0
		.amdhsa_next_free_vgpr 106
		.amdhsa_next_free_sgpr 42
		.amdhsa_reserve_vcc 1
		.amdhsa_reserve_flat_scratch 0
		.amdhsa_float_round_mode_32 0
		.amdhsa_float_round_mode_16_64 0
		.amdhsa_float_denorm_mode_32 3
		.amdhsa_float_denorm_mode_16_64 3
		.amdhsa_dx10_clamp 1
		.amdhsa_ieee_mode 1
		.amdhsa_fp16_overflow 0
		.amdhsa_exception_fp_ieee_invalid_op 0
		.amdhsa_exception_fp_denorm_src 0
		.amdhsa_exception_fp_ieee_div_zero 0
		.amdhsa_exception_fp_ieee_overflow 0
		.amdhsa_exception_fp_ieee_underflow 0
		.amdhsa_exception_fp_ieee_inexact 0
		.amdhsa_exception_int_div_zero 0
	.end_amdhsa_kernel
	.text
.Lfunc_end0:
	.size	fft_rtc_fwd_len168_factors_7_8_3_wgs_252_tpt_21_halfLds_dim2_dp_op_CI_CI_sbcc_twdbase5_3step_dirReg_intrinsicReadWrite, .Lfunc_end0-fft_rtc_fwd_len168_factors_7_8_3_wgs_252_tpt_21_halfLds_dim2_dp_op_CI_CI_sbcc_twdbase5_3step_dirReg_intrinsicReadWrite
                                        ; -- End function
	.section	.AMDGPU.csdata,"",@progbits
; Kernel info:
; codeLenInByte = 7188
; NumSgprs: 46
; NumVgprs: 106
; ScratchSize: 0
; MemoryBound: 0
; FloatMode: 240
; IeeeMode: 1
; LDSByteSize: 0 bytes/workgroup (compile time only)
; SGPRBlocks: 5
; VGPRBlocks: 26
; NumSGPRsForWavesPerEU: 46
; NumVGPRsForWavesPerEU: 106
; Occupancy: 2
; WaveLimiterHint : 0
; COMPUTE_PGM_RSRC2:SCRATCH_EN: 0
; COMPUTE_PGM_RSRC2:USER_SGPR: 6
; COMPUTE_PGM_RSRC2:TRAP_HANDLER: 0
; COMPUTE_PGM_RSRC2:TGID_X_EN: 1
; COMPUTE_PGM_RSRC2:TGID_Y_EN: 0
; COMPUTE_PGM_RSRC2:TGID_Z_EN: 0
; COMPUTE_PGM_RSRC2:TIDIG_COMP_CNT: 0
	.type	__hip_cuid_37c85ed4aa5dd9ba,@object ; @__hip_cuid_37c85ed4aa5dd9ba
	.section	.bss,"aw",@nobits
	.globl	__hip_cuid_37c85ed4aa5dd9ba
__hip_cuid_37c85ed4aa5dd9ba:
	.byte	0                               ; 0x0
	.size	__hip_cuid_37c85ed4aa5dd9ba, 1

	.ident	"AMD clang version 19.0.0git (https://github.com/RadeonOpenCompute/llvm-project roc-6.4.0 25133 c7fe45cf4b819c5991fe208aaa96edf142730f1d)"
	.section	".note.GNU-stack","",@progbits
	.addrsig
	.addrsig_sym __hip_cuid_37c85ed4aa5dd9ba
	.amdgpu_metadata
---
amdhsa.kernels:
  - .args:
      - .actual_access:  read_only
        .address_space:  global
        .offset:         0
        .size:           8
        .value_kind:     global_buffer
      - .address_space:  global
        .offset:         8
        .size:           8
        .value_kind:     global_buffer
      - .actual_access:  read_only
        .address_space:  global
        .offset:         16
        .size:           8
        .value_kind:     global_buffer
      - .actual_access:  read_only
        .address_space:  global
        .offset:         24
        .size:           8
        .value_kind:     global_buffer
      - .actual_access:  read_only
        .address_space:  global
        .offset:         32
        .size:           8
        .value_kind:     global_buffer
      - .offset:         40
        .size:           8
        .value_kind:     by_value
      - .actual_access:  read_only
        .address_space:  global
        .offset:         48
        .size:           8
        .value_kind:     global_buffer
      - .actual_access:  read_only
        .address_space:  global
        .offset:         56
        .size:           8
        .value_kind:     global_buffer
      - .offset:         64
        .size:           4
        .value_kind:     by_value
      - .actual_access:  read_only
        .address_space:  global
        .offset:         72
        .size:           8
        .value_kind:     global_buffer
      - .actual_access:  read_only
        .address_space:  global
        .offset:         80
        .size:           8
        .value_kind:     global_buffer
      - .address_space:  global
        .offset:         88
        .size:           8
        .value_kind:     global_buffer
      - .address_space:  global
        .offset:         96
        .size:           8
        .value_kind:     global_buffer
    .group_segment_fixed_size: 0
    .kernarg_segment_align: 8
    .kernarg_segment_size: 104
    .language:       OpenCL C
    .language_version:
      - 2
      - 0
    .max_flat_workgroup_size: 252
    .name:           fft_rtc_fwd_len168_factors_7_8_3_wgs_252_tpt_21_halfLds_dim2_dp_op_CI_CI_sbcc_twdbase5_3step_dirReg_intrinsicReadWrite
    .private_segment_fixed_size: 0
    .sgpr_count:     46
    .sgpr_spill_count: 0
    .symbol:         fft_rtc_fwd_len168_factors_7_8_3_wgs_252_tpt_21_halfLds_dim2_dp_op_CI_CI_sbcc_twdbase5_3step_dirReg_intrinsicReadWrite.kd
    .uniform_work_group_size: 1
    .uses_dynamic_stack: false
    .vgpr_count:     106
    .vgpr_spill_count: 0
    .wavefront_size: 64
amdhsa.target:   amdgcn-amd-amdhsa--gfx906
amdhsa.version:
  - 1
  - 2
...

	.end_amdgpu_metadata
